;; amdgpu-corpus repo=ROCm/rocFFT kind=compiled arch=gfx1100 opt=O3
	.text
	.amdgcn_target "amdgcn-amd-amdhsa--gfx1100"
	.amdhsa_code_object_version 6
	.protected	fft_rtc_back_len98_factors_2_7_7_wgs_252_tpt_14_sp_op_CI_CI_unitstride_sbrr_C2R_dirReg ; -- Begin function fft_rtc_back_len98_factors_2_7_7_wgs_252_tpt_14_sp_op_CI_CI_unitstride_sbrr_C2R_dirReg
	.globl	fft_rtc_back_len98_factors_2_7_7_wgs_252_tpt_14_sp_op_CI_CI_unitstride_sbrr_C2R_dirReg
	.p2align	8
	.type	fft_rtc_back_len98_factors_2_7_7_wgs_252_tpt_14_sp_op_CI_CI_unitstride_sbrr_C2R_dirReg,@function
fft_rtc_back_len98_factors_2_7_7_wgs_252_tpt_14_sp_op_CI_CI_unitstride_sbrr_C2R_dirReg: ; @fft_rtc_back_len98_factors_2_7_7_wgs_252_tpt_14_sp_op_CI_CI_unitstride_sbrr_C2R_dirReg
; %bb.0:
	s_load_b128 s[8:11], s[0:1], 0x0
	v_mul_u32_u24_e32 v1, 0x124a, v0
	s_clause 0x1
	s_load_b128 s[4:7], s[0:1], 0x58
	s_load_b128 s[16:19], s[0:1], 0x18
	v_mov_b32_e32 v10, 0
	v_lshrrev_b32_e32 v3, 16, v1
	v_mov_b32_e32 v1, 0
	v_mov_b32_e32 v2, 0
	s_delay_alu instid0(VALU_DEP_3) | instskip(SKIP_1) | instid1(VALU_DEP_3)
	v_mad_u64_u32 v[8:9], null, s15, 18, v[3:4]
	v_mov_b32_e32 v9, v10
	v_dual_mov_b32 v5, v2 :: v_dual_mov_b32 v4, v1
	s_delay_alu instid0(VALU_DEP_2) | instskip(SKIP_2) | instid1(VALU_DEP_1)
	v_dual_mov_b32 v6, v8 :: v_dual_mov_b32 v7, v9
	s_waitcnt lgkmcnt(0)
	v_cmp_lt_u64_e64 s2, s[10:11], 2
	s_and_b32 vcc_lo, exec_lo, s2
	s_cbranch_vccnz .LBB0_8
; %bb.1:
	s_load_b64 s[2:3], s[0:1], 0x10
	v_mov_b32_e32 v1, 0
	v_dual_mov_b32 v2, 0 :: v_dual_mov_b32 v13, v9
	s_add_u32 s12, s18, 8
	s_addc_u32 s13, s19, 0
	v_mov_b32_e32 v12, v8
	s_add_u32 s14, s16, 8
	v_dual_mov_b32 v5, v2 :: v_dual_mov_b32 v4, v1
	s_addc_u32 s15, s17, 0
	s_mov_b64 s[22:23], 1
	s_waitcnt lgkmcnt(0)
	s_add_u32 s20, s2, 8
	s_addc_u32 s21, s3, 0
.LBB0_2:                                ; =>This Inner Loop Header: Depth=1
	s_load_b64 s[24:25], s[20:21], 0x0
                                        ; implicit-def: $vgpr6_vgpr7
	s_mov_b32 s2, exec_lo
	s_waitcnt lgkmcnt(0)
	v_or_b32_e32 v11, s25, v13
	s_delay_alu instid0(VALU_DEP_1)
	v_cmpx_ne_u64_e32 0, v[10:11]
	s_xor_b32 s3, exec_lo, s2
	s_cbranch_execz .LBB0_4
; %bb.3:                                ;   in Loop: Header=BB0_2 Depth=1
	v_cvt_f32_u32_e32 v3, s24
	v_cvt_f32_u32_e32 v6, s25
	s_sub_u32 s2, 0, s24
	s_subb_u32 s26, 0, s25
	s_delay_alu instid0(VALU_DEP_1) | instskip(NEXT) | instid1(VALU_DEP_1)
	v_fmac_f32_e32 v3, 0x4f800000, v6
	v_rcp_f32_e32 v3, v3
	s_waitcnt_depctr 0xfff
	v_mul_f32_e32 v3, 0x5f7ffffc, v3
	s_delay_alu instid0(VALU_DEP_1) | instskip(NEXT) | instid1(VALU_DEP_1)
	v_mul_f32_e32 v6, 0x2f800000, v3
	v_trunc_f32_e32 v6, v6
	s_delay_alu instid0(VALU_DEP_1) | instskip(SKIP_1) | instid1(VALU_DEP_2)
	v_fmac_f32_e32 v3, 0xcf800000, v6
	v_cvt_u32_f32_e32 v6, v6
	v_cvt_u32_f32_e32 v3, v3
	s_delay_alu instid0(VALU_DEP_2) | instskip(NEXT) | instid1(VALU_DEP_2)
	v_mul_lo_u32 v7, s2, v6
	v_mul_hi_u32 v9, s2, v3
	v_mul_lo_u32 v11, s26, v3
	s_delay_alu instid0(VALU_DEP_2) | instskip(SKIP_1) | instid1(VALU_DEP_2)
	v_add_nc_u32_e32 v7, v9, v7
	v_mul_lo_u32 v9, s2, v3
	v_add_nc_u32_e32 v7, v7, v11
	s_delay_alu instid0(VALU_DEP_2) | instskip(NEXT) | instid1(VALU_DEP_2)
	v_mul_hi_u32 v11, v3, v9
	v_mul_lo_u32 v14, v3, v7
	v_mul_hi_u32 v15, v3, v7
	v_mul_hi_u32 v16, v6, v9
	v_mul_lo_u32 v9, v6, v9
	v_mul_hi_u32 v17, v6, v7
	v_mul_lo_u32 v7, v6, v7
	v_add_co_u32 v11, vcc_lo, v11, v14
	v_add_co_ci_u32_e32 v14, vcc_lo, 0, v15, vcc_lo
	s_delay_alu instid0(VALU_DEP_2) | instskip(NEXT) | instid1(VALU_DEP_2)
	v_add_co_u32 v9, vcc_lo, v11, v9
	v_add_co_ci_u32_e32 v9, vcc_lo, v14, v16, vcc_lo
	v_add_co_ci_u32_e32 v11, vcc_lo, 0, v17, vcc_lo
	s_delay_alu instid0(VALU_DEP_2) | instskip(NEXT) | instid1(VALU_DEP_2)
	v_add_co_u32 v7, vcc_lo, v9, v7
	v_add_co_ci_u32_e32 v9, vcc_lo, 0, v11, vcc_lo
	s_delay_alu instid0(VALU_DEP_2) | instskip(NEXT) | instid1(VALU_DEP_2)
	v_add_co_u32 v3, vcc_lo, v3, v7
	v_add_co_ci_u32_e32 v6, vcc_lo, v6, v9, vcc_lo
	s_delay_alu instid0(VALU_DEP_2) | instskip(SKIP_1) | instid1(VALU_DEP_3)
	v_mul_hi_u32 v7, s2, v3
	v_mul_lo_u32 v11, s26, v3
	v_mul_lo_u32 v9, s2, v6
	s_delay_alu instid0(VALU_DEP_1) | instskip(SKIP_1) | instid1(VALU_DEP_2)
	v_add_nc_u32_e32 v7, v7, v9
	v_mul_lo_u32 v9, s2, v3
	v_add_nc_u32_e32 v7, v7, v11
	s_delay_alu instid0(VALU_DEP_2) | instskip(NEXT) | instid1(VALU_DEP_2)
	v_mul_hi_u32 v11, v3, v9
	v_mul_lo_u32 v14, v3, v7
	v_mul_hi_u32 v15, v3, v7
	v_mul_hi_u32 v16, v6, v9
	v_mul_lo_u32 v9, v6, v9
	v_mul_hi_u32 v17, v6, v7
	v_mul_lo_u32 v7, v6, v7
	v_add_co_u32 v11, vcc_lo, v11, v14
	v_add_co_ci_u32_e32 v14, vcc_lo, 0, v15, vcc_lo
	s_delay_alu instid0(VALU_DEP_2) | instskip(NEXT) | instid1(VALU_DEP_2)
	v_add_co_u32 v9, vcc_lo, v11, v9
	v_add_co_ci_u32_e32 v9, vcc_lo, v14, v16, vcc_lo
	v_add_co_ci_u32_e32 v11, vcc_lo, 0, v17, vcc_lo
	s_delay_alu instid0(VALU_DEP_2) | instskip(NEXT) | instid1(VALU_DEP_2)
	v_add_co_u32 v7, vcc_lo, v9, v7
	v_add_co_ci_u32_e32 v9, vcc_lo, 0, v11, vcc_lo
	s_delay_alu instid0(VALU_DEP_2) | instskip(NEXT) | instid1(VALU_DEP_2)
	v_add_co_u32 v3, vcc_lo, v3, v7
	v_add_co_ci_u32_e32 v9, vcc_lo, v6, v9, vcc_lo
	s_delay_alu instid0(VALU_DEP_2) | instskip(SKIP_1) | instid1(VALU_DEP_3)
	v_mul_hi_u32 v11, v12, v3
	v_mad_u64_u32 v[14:15], null, v13, v3, 0
	v_mad_u64_u32 v[6:7], null, v12, v9, 0
	v_mad_u64_u32 v[16:17], null, v13, v9, 0
	s_delay_alu instid0(VALU_DEP_2) | instskip(NEXT) | instid1(VALU_DEP_3)
	v_add_co_u32 v3, vcc_lo, v11, v6
	v_add_co_ci_u32_e32 v6, vcc_lo, 0, v7, vcc_lo
	s_delay_alu instid0(VALU_DEP_2) | instskip(NEXT) | instid1(VALU_DEP_2)
	v_add_co_u32 v3, vcc_lo, v3, v14
	v_add_co_ci_u32_e32 v3, vcc_lo, v6, v15, vcc_lo
	v_add_co_ci_u32_e32 v6, vcc_lo, 0, v17, vcc_lo
	s_delay_alu instid0(VALU_DEP_2) | instskip(NEXT) | instid1(VALU_DEP_2)
	v_add_co_u32 v3, vcc_lo, v3, v16
	v_add_co_ci_u32_e32 v9, vcc_lo, 0, v6, vcc_lo
	s_delay_alu instid0(VALU_DEP_2) | instskip(SKIP_1) | instid1(VALU_DEP_3)
	v_mul_lo_u32 v11, s25, v3
	v_mad_u64_u32 v[6:7], null, s24, v3, 0
	v_mul_lo_u32 v14, s24, v9
	s_delay_alu instid0(VALU_DEP_2) | instskip(NEXT) | instid1(VALU_DEP_2)
	v_sub_co_u32 v6, vcc_lo, v12, v6
	v_add3_u32 v7, v7, v14, v11
	s_delay_alu instid0(VALU_DEP_1) | instskip(NEXT) | instid1(VALU_DEP_1)
	v_sub_nc_u32_e32 v11, v13, v7
	v_subrev_co_ci_u32_e64 v11, s2, s25, v11, vcc_lo
	v_add_co_u32 v14, s2, v3, 2
	s_delay_alu instid0(VALU_DEP_1) | instskip(SKIP_3) | instid1(VALU_DEP_3)
	v_add_co_ci_u32_e64 v15, s2, 0, v9, s2
	v_sub_co_u32 v16, s2, v6, s24
	v_sub_co_ci_u32_e32 v7, vcc_lo, v13, v7, vcc_lo
	v_subrev_co_ci_u32_e64 v11, s2, 0, v11, s2
	v_cmp_le_u32_e32 vcc_lo, s24, v16
	s_delay_alu instid0(VALU_DEP_3) | instskip(SKIP_1) | instid1(VALU_DEP_4)
	v_cmp_eq_u32_e64 s2, s25, v7
	v_cndmask_b32_e64 v16, 0, -1, vcc_lo
	v_cmp_le_u32_e32 vcc_lo, s25, v11
	v_cndmask_b32_e64 v17, 0, -1, vcc_lo
	v_cmp_le_u32_e32 vcc_lo, s24, v6
	;; [unrolled: 2-line block ×3, first 2 shown]
	v_cndmask_b32_e64 v18, 0, -1, vcc_lo
	v_cmp_eq_u32_e32 vcc_lo, s25, v11
	s_delay_alu instid0(VALU_DEP_2) | instskip(SKIP_3) | instid1(VALU_DEP_3)
	v_cndmask_b32_e64 v6, v18, v6, s2
	v_cndmask_b32_e32 v11, v17, v16, vcc_lo
	v_add_co_u32 v16, vcc_lo, v3, 1
	v_add_co_ci_u32_e32 v17, vcc_lo, 0, v9, vcc_lo
	v_cmp_ne_u32_e32 vcc_lo, 0, v11
	s_delay_alu instid0(VALU_DEP_2) | instskip(NEXT) | instid1(VALU_DEP_4)
	v_cndmask_b32_e32 v7, v17, v15, vcc_lo
	v_cndmask_b32_e32 v11, v16, v14, vcc_lo
	v_cmp_ne_u32_e32 vcc_lo, 0, v6
	s_delay_alu instid0(VALU_DEP_3) | instskip(NEXT) | instid1(VALU_DEP_3)
	v_cndmask_b32_e32 v7, v9, v7, vcc_lo
	v_cndmask_b32_e32 v6, v3, v11, vcc_lo
.LBB0_4:                                ;   in Loop: Header=BB0_2 Depth=1
	s_and_not1_saveexec_b32 s2, s3
	s_cbranch_execz .LBB0_6
; %bb.5:                                ;   in Loop: Header=BB0_2 Depth=1
	v_cvt_f32_u32_e32 v3, s24
	s_sub_i32 s3, 0, s24
	s_delay_alu instid0(VALU_DEP_1) | instskip(SKIP_2) | instid1(VALU_DEP_1)
	v_rcp_iflag_f32_e32 v3, v3
	s_waitcnt_depctr 0xfff
	v_mul_f32_e32 v3, 0x4f7ffffe, v3
	v_cvt_u32_f32_e32 v3, v3
	s_delay_alu instid0(VALU_DEP_1) | instskip(NEXT) | instid1(VALU_DEP_1)
	v_mul_lo_u32 v6, s3, v3
	v_mul_hi_u32 v6, v3, v6
	s_delay_alu instid0(VALU_DEP_1) | instskip(NEXT) | instid1(VALU_DEP_1)
	v_add_nc_u32_e32 v3, v3, v6
	v_mul_hi_u32 v3, v12, v3
	s_delay_alu instid0(VALU_DEP_1) | instskip(SKIP_1) | instid1(VALU_DEP_2)
	v_mul_lo_u32 v6, v3, s24
	v_add_nc_u32_e32 v7, 1, v3
	v_sub_nc_u32_e32 v6, v12, v6
	s_delay_alu instid0(VALU_DEP_1) | instskip(SKIP_1) | instid1(VALU_DEP_2)
	v_subrev_nc_u32_e32 v9, s24, v6
	v_cmp_le_u32_e32 vcc_lo, s24, v6
	v_dual_cndmask_b32 v6, v6, v9 :: v_dual_cndmask_b32 v3, v3, v7
	s_delay_alu instid0(VALU_DEP_1) | instskip(NEXT) | instid1(VALU_DEP_2)
	v_cmp_le_u32_e32 vcc_lo, s24, v6
	v_add_nc_u32_e32 v7, 1, v3
	s_delay_alu instid0(VALU_DEP_1)
	v_dual_cndmask_b32 v6, v3, v7 :: v_dual_mov_b32 v7, v10
.LBB0_6:                                ;   in Loop: Header=BB0_2 Depth=1
	s_or_b32 exec_lo, exec_lo, s2
	s_delay_alu instid0(VALU_DEP_1) | instskip(NEXT) | instid1(VALU_DEP_2)
	v_mul_lo_u32 v3, v7, s24
	v_mul_lo_u32 v9, v6, s25
	s_load_b64 s[2:3], s[14:15], 0x0
	v_mad_u64_u32 v[14:15], null, v6, s24, 0
	s_load_b64 s[24:25], s[12:13], 0x0
	s_add_u32 s22, s22, 1
	s_addc_u32 s23, s23, 0
	s_add_u32 s12, s12, 8
	s_addc_u32 s13, s13, 0
	s_add_u32 s14, s14, 8
	s_delay_alu instid0(VALU_DEP_1) | instskip(SKIP_3) | instid1(VALU_DEP_2)
	v_add3_u32 v3, v15, v9, v3
	v_sub_co_u32 v9, vcc_lo, v12, v14
	s_addc_u32 s15, s15, 0
	s_add_u32 s20, s20, 8
	v_sub_co_ci_u32_e32 v3, vcc_lo, v13, v3, vcc_lo
	s_addc_u32 s21, s21, 0
	s_waitcnt lgkmcnt(0)
	s_delay_alu instid0(VALU_DEP_1)
	v_mul_lo_u32 v15, s2, v3
	v_mul_lo_u32 v16, s3, v9
	v_mad_u64_u32 v[11:12], null, s2, v9, v[1:2]
	v_mul_lo_u32 v3, s24, v3
	v_mul_lo_u32 v17, s25, v9
	v_mad_u64_u32 v[13:14], null, s24, v9, v[4:5]
	v_cmp_ge_u64_e64 s2, s[22:23], s[10:11]
	v_add3_u32 v2, v16, v12, v15
	s_delay_alu instid0(VALU_DEP_3) | instskip(NEXT) | instid1(VALU_DEP_4)
	v_dual_mov_b32 v1, v11 :: v_dual_mov_b32 v4, v13
	v_add3_u32 v5, v17, v14, v3
	s_delay_alu instid0(VALU_DEP_4)
	s_and_b32 vcc_lo, exec_lo, s2
	s_cbranch_vccnz .LBB0_8
; %bb.7:                                ;   in Loop: Header=BB0_2 Depth=1
	v_dual_mov_b32 v13, v7 :: v_dual_mov_b32 v12, v6
	s_branch .LBB0_2
.LBB0_8:
	s_load_b64 s[0:1], s[0:1], 0x28
	v_mul_hi_u32 v3, 0x38e38e39, v8
	v_mul_hi_u32 v9, 0x12492493, v0
	s_lshl_b64 s[10:11], s[10:11], 3
	s_delay_alu instid0(SALU_CYCLE_1) | instskip(SKIP_1) | instid1(VALU_DEP_2)
	s_add_u32 s2, s18, s10
	s_addc_u32 s3, s19, s11
	v_lshrrev_b32_e32 v3, 2, v3
	s_delay_alu instid0(VALU_DEP_1) | instskip(SKIP_3) | instid1(VALU_DEP_3)
	v_mul_lo_u32 v3, v3, 18
	s_waitcnt lgkmcnt(0)
	v_cmp_gt_u64_e32 vcc_lo, s[0:1], v[6:7]
	v_cmp_le_u64_e64 s0, s[0:1], v[6:7]
	v_sub_nc_u32_e32 v3, v8, v3
                                        ; implicit-def: $vgpr8
	s_delay_alu instid0(VALU_DEP_2) | instskip(NEXT) | instid1(SALU_CYCLE_1)
	s_and_saveexec_b32 s1, s0
	s_xor_b32 s0, exec_lo, s1
; %bb.9:
	v_mul_u32_u24_e32 v1, 14, v9
                                        ; implicit-def: $vgpr9
	s_delay_alu instid0(VALU_DEP_1)
	v_sub_nc_u32_e32 v8, v0, v1
                                        ; implicit-def: $vgpr0
                                        ; implicit-def: $vgpr1_vgpr2
; %bb.10:
	s_or_saveexec_b32 s1, s0
	s_load_b64 s[2:3], s[2:3], 0x0
	v_mul_u32_u24_e32 v3, 0x63, v3
	s_delay_alu instid0(VALU_DEP_1)
	v_lshlrev_b32_e32 v14, 3, v3
	s_xor_b32 exec_lo, exec_lo, s1
	s_cbranch_execz .LBB0_14
; %bb.11:
	s_add_u32 s10, s16, s10
	s_addc_u32 s11, s17, s11
	v_lshlrev_b64 v[1:2], 3, v[1:2]
	s_load_b64 s[10:11], s[10:11], 0x0
	s_waitcnt lgkmcnt(0)
	v_mul_lo_u32 v8, s11, v6
	v_mul_lo_u32 v12, s10, v7
	v_mad_u64_u32 v[10:11], null, s10, v6, 0
	s_delay_alu instid0(VALU_DEP_1) | instskip(SKIP_1) | instid1(VALU_DEP_2)
	v_add3_u32 v11, v11, v12, v8
	v_mul_u32_u24_e32 v8, 14, v9
	v_lshlrev_b64 v[9:10], 3, v[10:11]
	s_delay_alu instid0(VALU_DEP_2) | instskip(NEXT) | instid1(VALU_DEP_1)
	v_sub_nc_u32_e32 v8, v0, v8
	v_lshlrev_b32_e32 v13, 3, v8
	s_delay_alu instid0(VALU_DEP_3) | instskip(NEXT) | instid1(VALU_DEP_1)
	v_add_co_u32 v0, s0, s4, v9
	v_add_co_ci_u32_e64 v9, s0, s5, v10, s0
	s_mov_b32 s4, exec_lo
	s_delay_alu instid0(VALU_DEP_2) | instskip(NEXT) | instid1(VALU_DEP_1)
	v_add_co_u32 v0, s0, v0, v1
	v_add_co_ci_u32_e64 v1, s0, v9, v2, s0
	v_add3_u32 v2, 0, v14, v13
	s_delay_alu instid0(VALU_DEP_3) | instskip(NEXT) | instid1(VALU_DEP_1)
	v_add_co_u32 v9, s0, v0, v13
	v_add_co_ci_u32_e64 v10, s0, 0, v1, s0
	s_clause 0x6
	global_load_b64 v[11:12], v[9:10], off
	global_load_b64 v[15:16], v[9:10], off offset:112
	global_load_b64 v[17:18], v[9:10], off offset:224
	;; [unrolled: 1-line block ×6, first 2 shown]
	s_waitcnt vmcnt(5)
	ds_store_2addr_b64 v2, v[11:12], v[15:16] offset1:14
	s_waitcnt vmcnt(3)
	ds_store_2addr_b64 v2, v[17:18], v[19:20] offset0:28 offset1:42
	s_waitcnt vmcnt(1)
	ds_store_2addr_b64 v2, v[21:22], v[23:24] offset0:56 offset1:70
	s_waitcnt vmcnt(0)
	ds_store_b64 v2, v[9:10] offset:672
	v_cmpx_eq_u32_e32 13, v8
	s_cbranch_execz .LBB0_13
; %bb.12:
	global_load_b64 v[0:1], v[0:1], off offset:784
	v_mov_b32_e32 v8, 13
	s_waitcnt vmcnt(0)
	ds_store_b64 v2, v[0:1] offset:680
.LBB0_13:
	s_or_b32 exec_lo, exec_lo, s4
.LBB0_14:
	s_delay_alu instid0(SALU_CYCLE_1)
	s_or_b32 exec_lo, exec_lo, s1
	v_lshl_add_u32 v11, v3, 3, 0
	v_lshlrev_b32_e32 v15, 3, v8
	s_waitcnt lgkmcnt(0)
	s_barrier
	buffer_gl0_inv
	s_mov_b32 s1, exec_lo
	v_add_nc_u32_e32 v13, v11, v15
	v_sub_nc_u32_e32 v10, v11, v15
                                        ; implicit-def: $vgpr2_vgpr3
	ds_load_b32 v12, v13
	ds_load_b32 v16, v10 offset:784
	s_waitcnt lgkmcnt(0)
	v_add_f32_e32 v0, v16, v12
	v_sub_f32_e32 v1, v12, v16
	v_cmpx_ne_u32_e32 0, v8
	s_xor_b32 s1, exec_lo, s1
	s_cbranch_execz .LBB0_16
; %bb.15:
	v_mov_b32_e32 v9, 0
	v_add_f32_e32 v17, v16, v12
	v_sub_f32_e32 v12, v12, v16
	s_delay_alu instid0(VALU_DEP_3) | instskip(NEXT) | instid1(VALU_DEP_1)
	v_lshlrev_b64 v[0:1], 3, v[8:9]
	v_add_co_u32 v0, s0, s8, v0
	s_delay_alu instid0(VALU_DEP_1)
	v_add_co_ci_u32_e64 v1, s0, s9, v1, s0
	global_load_b64 v[2:3], v[0:1], off offset:768
	ds_load_b32 v0, v10 offset:788
	ds_load_b32 v1, v13 offset:4
	s_waitcnt lgkmcnt(0)
	v_add_f32_e32 v18, v0, v1
	v_sub_f32_e32 v0, v1, v0
	s_waitcnt vmcnt(0)
	s_delay_alu instid0(VALU_DEP_1) | instskip(SKIP_1) | instid1(VALU_DEP_2)
	v_fma_f32 v1, v18, v3, v0
	v_fma_f32 v16, -v12, v3, v17
	v_fmac_f32_e32 v1, v12, v2
	s_delay_alu instid0(VALU_DEP_2) | instskip(SKIP_2) | instid1(VALU_DEP_2)
	v_fmac_f32_e32 v16, v2, v18
	v_fma_f32 v19, v12, v3, v17
	v_fma_f32 v17, v18, v3, -v0
	v_fma_f32 v0, -v2, v18, v19
	s_delay_alu instid0(VALU_DEP_2)
	v_fmac_f32_e32 v17, v12, v2
	v_dual_mov_b32 v2, v8 :: v_dual_mov_b32 v3, v9
	ds_store_b64 v10, v[16:17] offset:784
.LBB0_16:
	s_and_not1_saveexec_b32 s0, s1
	s_cbranch_execz .LBB0_18
; %bb.17:
	ds_load_b64 v[2:3], v11 offset:392
	s_waitcnt lgkmcnt(0)
	v_dual_add_f32 v16, v2, v2 :: v_dual_mul_f32 v17, -2.0, v3
	v_mov_b32_e32 v2, 0
	v_mov_b32_e32 v3, 0
	ds_store_b64 v11, v[16:17] offset:392
.LBB0_18:
	s_or_b32 exec_lo, exec_lo, s0
	v_lshlrev_b64 v[2:3], 3, v[2:3]
	s_add_u32 s0, s8, 0x300
	s_addc_u32 s1, s9, 0
	s_delay_alu instid0(VALU_DEP_1) | instskip(NEXT) | instid1(VALU_DEP_1)
	v_add_co_u32 v2, s0, s0, v2
	v_add_co_ci_u32_e64 v3, s0, s1, v3, s0
	v_cmp_gt_u32_e64 s0, 7, v8
	s_clause 0x1
	global_load_b64 v[16:17], v[2:3], off offset:112
	global_load_b64 v[18:19], v[2:3], off offset:224
	ds_store_b64 v13, v[0:1]
	ds_load_b64 v[0:1], v13 offset:112
	ds_load_b64 v[20:21], v10 offset:672
	s_waitcnt lgkmcnt(0)
	v_dual_add_f32 v9, v0, v20 :: v_dual_add_f32 v12, v21, v1
	v_sub_f32_e32 v22, v0, v20
	v_sub_f32_e32 v0, v1, v21
	s_waitcnt vmcnt(1)
	s_delay_alu instid0(VALU_DEP_1) | instskip(NEXT) | instid1(VALU_DEP_3)
	v_fma_f32 v1, v12, v17, v0
	v_fma_f32 v23, v22, v17, v9
	v_fma_f32 v20, -v22, v17, v9
	s_delay_alu instid0(VALU_DEP_3) | instskip(SKIP_1) | instid1(VALU_DEP_4)
	v_fmac_f32_e32 v1, v22, v16
	v_fma_f32 v21, v12, v17, -v0
	v_fma_f32 v0, -v16, v12, v23
	s_delay_alu instid0(VALU_DEP_4) | instskip(NEXT) | instid1(VALU_DEP_3)
	v_fmac_f32_e32 v20, v16, v12
	v_fmac_f32_e32 v21, v22, v16
	ds_store_b64 v13, v[0:1] offset:112
	ds_store_b64 v10, v[20:21] offset:672
	ds_load_b64 v[0:1], v13 offset:224
	ds_load_b64 v[16:17], v10 offset:560
	s_waitcnt lgkmcnt(0)
	v_dual_add_f32 v12, v17, v1 :: v_dual_add_f32 v9, v0, v16
	v_sub_f32_e32 v20, v0, v16
	v_sub_f32_e32 v0, v1, v17
	s_waitcnt vmcnt(0)
	s_delay_alu instid0(VALU_DEP_2) | instskip(NEXT) | instid1(VALU_DEP_2)
	v_fma_f32 v21, v20, v19, v9
	v_fma_f32 v1, v12, v19, v0
	v_fma_f32 v16, -v20, v19, v9
	v_fma_f32 v17, v12, v19, -v0
	s_delay_alu instid0(VALU_DEP_4) | instskip(NEXT) | instid1(VALU_DEP_3)
	v_fma_f32 v0, -v18, v12, v21
	v_dual_fmac_f32 v1, v20, v18 :: v_dual_fmac_f32 v16, v18, v12
	s_delay_alu instid0(VALU_DEP_3)
	v_fmac_f32_e32 v17, v20, v18
	ds_store_b64 v13, v[0:1] offset:224
	ds_store_b64 v10, v[16:17] offset:560
	s_and_saveexec_b32 s1, s0
	s_cbranch_execz .LBB0_20
; %bb.19:
	global_load_b64 v[0:1], v[2:3], off offset:336
	ds_load_b64 v[2:3], v13 offset:336
	ds_load_b64 v[16:17], v10 offset:448
	s_waitcnt lgkmcnt(0)
	v_dual_add_f32 v9, v2, v16 :: v_dual_add_f32 v12, v17, v3
	v_dual_sub_f32 v18, v2, v16 :: v_dual_sub_f32 v3, v3, v17
	s_waitcnt vmcnt(0)
	s_delay_alu instid0(VALU_DEP_1) | instskip(NEXT) | instid1(VALU_DEP_2)
	v_fma_f32 v19, v18, v1, v9
	v_fma_f32 v2, v12, v1, v3
	v_fma_f32 v16, -v18, v1, v9
	v_fma_f32 v17, v12, v1, -v3
	s_delay_alu instid0(VALU_DEP_4) | instskip(NEXT) | instid1(VALU_DEP_4)
	v_fma_f32 v1, -v0, v12, v19
	v_fmac_f32_e32 v2, v18, v0
	s_delay_alu instid0(VALU_DEP_4) | instskip(NEXT) | instid1(VALU_DEP_4)
	v_fmac_f32_e32 v16, v0, v12
	v_fmac_f32_e32 v17, v18, v0
	ds_store_b64 v13, v[1:2] offset:336
	ds_store_b64 v10, v[16:17] offset:448
.LBB0_20:
	s_or_b32 exec_lo, exec_lo, s1
	v_add3_u32 v12, 0, v15, v14
	s_waitcnt lgkmcnt(0)
	s_barrier
	buffer_gl0_inv
	s_barrier
	buffer_gl0_inv
	ds_load_2addr_b64 v[0:3], v12 offset0:42 offset1:49
	ds_load_b64 v[24:25], v13
	ds_load_2addr_b64 v[16:19], v12 offset0:14 offset1:28
	ds_load_2addr_b64 v[20:23], v12 offset0:63 offset1:77
	ds_load_b64 v[9:10], v12 offset:728
	v_lshlrev_b32_e32 v26, 4, v8
	v_add_nc_u32_e32 v27, v12, v15
	s_waitcnt lgkmcnt(0)
	s_barrier
	buffer_gl0_inv
	v_dual_sub_f32 v2, v24, v2 :: v_dual_sub_f32 v3, v25, v3
	v_dual_sub_f32 v21, v17, v21 :: v_dual_sub_f32 v20, v16, v20
	;; [unrolled: 1-line block ×3, first 2 shown]
	v_add3_u32 v15, v26, 0, v14
	s_delay_alu instid0(VALU_DEP_4)
	v_fma_f32 v24, v24, 2.0, -v2
	v_fma_f32 v25, v25, 2.0, -v3
	;; [unrolled: 1-line block ×6, first 2 shown]
	ds_store_2addr_b64 v27, v[24:25], v[2:3] offset1:1
	ds_store_2addr_b64 v15, v[16:17], v[20:21] offset0:28 offset1:29
	ds_store_2addr_b64 v15, v[18:19], v[22:23] offset0:56 offset1:57
	s_and_saveexec_b32 s1, s0
	s_cbranch_execz .LBB0_22
; %bb.21:
	v_dual_sub_f32 v3, v1, v10 :: v_dual_sub_f32 v2, v0, v9
	s_delay_alu instid0(VALU_DEP_1) | instskip(NEXT) | instid1(VALU_DEP_2)
	v_fma_f32 v1, v1, 2.0, -v3
	v_fma_f32 v0, v0, 2.0, -v2
	ds_store_2addr_b64 v15, v[0:1], v[2:3] offset0:84 offset1:85
.LBB0_22:
	s_or_b32 exec_lo, exec_lo, s1
	v_and_b32_e32 v9, 1, v8
	s_waitcnt lgkmcnt(0)
	s_barrier
	buffer_gl0_inv
	v_mul_u32_u24_e32 v35, 6, v8
	v_mul_u32_u24_e32 v0, 6, v9
	s_delay_alu instid0(VALU_DEP_1)
	v_lshlrev_b32_e32 v10, 3, v0
	s_clause 0x2
	global_load_b128 v[0:3], v10, s[8:9]
	global_load_b128 v[15:18], v10, s[8:9] offset:16
	global_load_b128 v[19:22], v10, s[8:9] offset:32
	ds_load_2addr_b64 v[23:26], v12 offset0:14 offset1:28
	ds_load_2addr_b64 v[27:30], v12 offset0:42 offset1:56
	v_lshrrev_b32_e32 v10, 1, v8
	ds_load_2addr_b64 v[31:34], v12 offset0:70 offset1:84
	v_lshlrev_b32_e32 v35, 3, v35
	v_mul_u32_u24_e32 v10, 14, v10
	s_waitcnt vmcnt(1) lgkmcnt(1)
	v_dual_mul_f32 v37, v3, v26 :: v_dual_mul_f32 v38, v16, v28
	v_dual_mul_f32 v39, v18, v30 :: v_dual_mul_f32 v16, v16, v27
	s_delay_alu instid0(VALU_DEP_3) | instskip(SKIP_3) | instid1(VALU_DEP_3)
	v_or_b32_e32 v9, v10, v9
	s_waitcnt vmcnt(0) lgkmcnt(0)
	v_dual_mul_f32 v3, v3, v25 :: v_dual_mul_f32 v40, v20, v32
	v_dual_mul_f32 v20, v20, v31 :: v_dual_mul_f32 v41, v22, v34
	v_lshlrev_b32_e32 v36, 3, v9
	ds_load_b64 v[9:10], v13
	v_dual_fmac_f32 v38, v15, v27 :: v_dual_fmac_f32 v39, v17, v29
	v_dual_fmac_f32 v41, v21, v33 :: v_dual_fmac_f32 v40, v19, v31
	v_add3_u32 v36, 0, v36, v14
	v_mul_f32_e32 v14, v1, v24
	v_mul_f32_e32 v1, v1, v23
	v_fmac_f32_e32 v37, v2, v25
	v_mul_f32_e32 v18, v18, v29
	s_waitcnt lgkmcnt(0)
	v_fmac_f32_e32 v14, v0, v23
	v_fma_f32 v0, v0, v24, -v1
	v_fma_f32 v1, v2, v26, -v3
	;; [unrolled: 1-line block ×4, first 2 shown]
	v_mul_f32_e32 v22, v22, v33
	v_fma_f32 v15, v17, v30, -v18
	v_sub_f32_e32 v20, v37, v40
	s_barrier
	v_add_f32_e32 v19, v1, v16
	v_fma_f32 v3, v21, v34, -v22
	v_add_f32_e32 v21, v2, v15
	v_add_f32_e32 v17, v14, v41
	v_dual_sub_f32 v14, v14, v41 :: v_dual_sub_f32 v1, v1, v16
	s_delay_alu instid0(VALU_DEP_4)
	v_add_f32_e32 v18, v0, v3
	v_dual_sub_f32 v0, v0, v3 :: v_dual_add_f32 v3, v37, v40
	v_add_f32_e32 v16, v38, v39
	buffer_gl0_inv
	v_add_f32_e32 v23, v19, v18
	v_sub_f32_e32 v22, v39, v38
	v_sub_f32_e32 v2, v15, v2
	v_add_f32_e32 v15, v3, v17
	v_dual_sub_f32 v24, v3, v17 :: v_dual_sub_f32 v17, v17, v16
	v_sub_f32_e32 v3, v16, v3
	v_dual_sub_f32 v25, v19, v18 :: v_dual_sub_f32 v18, v18, v21
	v_dual_sub_f32 v19, v21, v19 :: v_dual_add_f32 v26, v22, v20
	v_add_f32_e32 v15, v16, v15
	v_add_f32_e32 v27, v2, v1
	v_dual_sub_f32 v28, v22, v20 :: v_dual_mul_f32 v17, 0x3f4a47b2, v17
	v_dual_sub_f32 v29, v2, v1 :: v_dual_sub_f32 v20, v20, v14
	v_sub_f32_e32 v30, v1, v0
	v_add_f32_e32 v16, v21, v23
	v_dual_mul_f32 v23, 0x3d64c772, v3 :: v_dual_sub_f32 v2, v0, v2
	v_dual_sub_f32 v22, v14, v22 :: v_dual_add_f32 v21, v27, v0
	v_add_f32_e32 v14, v26, v14
	v_mul_f32_e32 v18, 0x3f4a47b2, v18
	v_mul_f32_e32 v27, 0x3f08b237, v28
	v_dual_mul_f32 v26, 0x3d64c772, v19 :: v_dual_add_f32 v1, v16, v10
	v_dual_mul_f32 v31, 0xbf5ff5aa, v30 :: v_dual_add_f32 v0, v15, v9
	v_fma_f32 v10, 0x3f3bfb3b, v24, -v23
	v_fmamk_f32 v3, v3, 0x3d64c772, v17
	v_mul_f32_e32 v28, 0x3f08b237, v29
	v_fma_f32 v17, 0xbf3bfb3b, v24, -v17
	v_fmamk_f32 v9, v19, 0x3d64c772, v18
	v_fma_f32 v19, 0x3f3bfb3b, v25, -v26
	v_fma_f32 v26, 0x3eae86e6, v2, -v31
	v_fmamk_f32 v24, v2, 0xbeae86e6, v28
	v_dual_fmamk_f32 v2, v15, 0xbf955555, v0 :: v_dual_fmamk_f32 v15, v16, 0xbf955555, v1
	v_mul_f32_e32 v29, 0xbf5ff5aa, v20
	v_fma_f32 v20, 0xbf5ff5aa, v20, -v27
	s_delay_alu instid0(VALU_DEP_4)
	v_fmac_f32_e32 v24, 0xbee1c552, v21
	v_fmamk_f32 v23, v22, 0xbeae86e6, v27
	v_add_f32_e32 v27, v9, v15
	v_fma_f32 v18, 0xbf3bfb3b, v25, -v18
	v_fma_f32 v25, 0xbf5ff5aa, v30, -v28
	v_fmac_f32_e32 v20, 0xbee1c552, v14
	v_add_f32_e32 v16, v10, v2
	v_dual_add_f32 v28, v17, v2 :: v_dual_add_f32 v17, v19, v15
	s_delay_alu instid0(VALU_DEP_4) | instskip(SKIP_4) | instid1(VALU_DEP_4)
	v_fmac_f32_e32 v25, 0xbee1c552, v21
	v_dual_fmac_f32 v26, 0xbee1c552, v21 :: v_dual_add_f32 v21, v3, v2
	v_fma_f32 v22, 0x3eae86e6, v22, -v29
	v_add_f32_e32 v29, v18, v15
	v_add_f32_e32 v15, v20, v17
	v_dual_sub_f32 v17, v17, v20 :: v_dual_add_f32 v2, v24, v21
	v_fmac_f32_e32 v23, 0xbee1c552, v14
	v_fmac_f32_e32 v22, 0xbee1c552, v14
	v_sub_f32_e32 v14, v16, v25
	v_add_f32_e32 v16, v25, v16
	s_delay_alu instid0(VALU_DEP_4)
	v_dual_sub_f32 v20, v21, v24 :: v_dual_add_f32 v21, v23, v27
	v_sub_f32_e32 v3, v27, v23
	v_dual_add_f32 v9, v26, v28 :: v_dual_sub_f32 v10, v29, v22
	v_dual_sub_f32 v18, v28, v26 :: v_dual_add_f32 v19, v22, v29
	ds_store_2addr_b64 v36, v[0:1], v[2:3] offset1:2
	ds_store_2addr_b64 v36, v[9:10], v[14:15] offset0:4 offset1:6
	ds_store_2addr_b64 v36, v[16:17], v[18:19] offset0:8 offset1:10
	ds_store_b64 v36, v[20:21] offset:96
	s_waitcnt lgkmcnt(0)
	s_barrier
	buffer_gl0_inv
	s_clause 0x2
	global_load_b128 v[0:3], v35, s[8:9] offset:96
	global_load_b128 v[14:17], v35, s[8:9] offset:112
	;; [unrolled: 1-line block ×3, first 2 shown]
	ds_load_2addr_b64 v[22:25], v12 offset0:14 offset1:28
	ds_load_2addr_b64 v[26:29], v12 offset0:42 offset1:56
	;; [unrolled: 1-line block ×3, first 2 shown]
	ds_load_b64 v[9:10], v13
	s_waitcnt vmcnt(0) lgkmcnt(0)
	s_barrier
	buffer_gl0_inv
	v_dual_mul_f32 v13, v1, v23 :: v_dual_mul_f32 v34, v3, v25
	v_mul_f32_e32 v1, v1, v22
	v_dual_mul_f32 v3, v3, v24 :: v_dual_mul_f32 v36, v17, v29
	v_dual_mul_f32 v35, v15, v27 :: v_dual_mul_f32 v38, v21, v33
	v_mul_f32_e32 v15, v15, v26
	v_dual_fmac_f32 v13, v0, v22 :: v_dual_fmac_f32 v34, v2, v24
	v_fma_f32 v0, v0, v23, -v1
	v_fma_f32 v1, v2, v25, -v3
	v_fmac_f32_e32 v36, v16, v28
	v_fma_f32 v2, v14, v27, -v15
	v_mul_f32_e32 v21, v21, v32
	v_dual_mul_f32 v37, v19, v31 :: v_dual_fmac_f32 v38, v20, v32
	v_mul_f32_e32 v19, v19, v30
	v_fmac_f32_e32 v35, v14, v26
	s_delay_alu instid0(VALU_DEP_4) | instskip(SKIP_3) | instid1(VALU_DEP_3)
	v_fma_f32 v3, v20, v33, -v21
	v_mul_f32_e32 v17, v17, v28
	v_fmac_f32_e32 v37, v18, v30
	v_fma_f32 v15, v18, v31, -v19
	v_fma_f32 v14, v16, v29, -v17
	v_dual_add_f32 v16, v13, v38 :: v_dual_add_f32 v17, v0, v3
	v_sub_f32_e32 v0, v0, v3
	s_delay_alu instid0(VALU_DEP_4)
	v_add_f32_e32 v18, v1, v15
	v_sub_f32_e32 v1, v1, v15
	v_dual_add_f32 v15, v35, v36 :: v_dual_add_f32 v20, v2, v14
	v_add_f32_e32 v3, v34, v37
	v_sub_f32_e32 v2, v14, v2
	v_add_f32_e32 v22, v18, v17
	v_sub_f32_e32 v24, v18, v17
	v_sub_f32_e32 v18, v20, v18
	v_dual_add_f32 v14, v3, v16 :: v_dual_sub_f32 v13, v13, v38
	v_dual_sub_f32 v23, v3, v16 :: v_dual_sub_f32 v28, v2, v1
	v_sub_f32_e32 v16, v16, v15
	v_dual_sub_f32 v21, v36, v35 :: v_dual_add_f32 v26, v2, v1
	s_delay_alu instid0(VALU_DEP_4) | instskip(NEXT) | instid1(VALU_DEP_3)
	v_dual_sub_f32 v17, v17, v20 :: v_dual_add_f32 v14, v15, v14
	v_dual_sub_f32 v3, v15, v3 :: v_dual_mul_f32 v16, 0x3f4a47b2, v16
	v_dual_sub_f32 v19, v34, v37 :: v_dual_sub_f32 v2, v0, v2
	v_sub_f32_e32 v29, v1, v0
	v_dual_add_f32 v15, v20, v22 :: v_dual_add_f32 v20, v26, v0
	s_delay_alu instid0(VALU_DEP_3) | instskip(SKIP_4) | instid1(VALU_DEP_4)
	v_add_f32_e32 v25, v21, v19
	v_dual_sub_f32 v27, v21, v19 :: v_dual_add_f32 v0, v14, v9
	v_dual_sub_f32 v21, v13, v21 :: v_dual_mul_f32 v22, 0x3d64c772, v3
	v_fmamk_f32 v3, v3, 0x3d64c772, v16
	v_mul_f32_e32 v17, 0x3f4a47b2, v17
	v_dual_sub_f32 v19, v19, v13 :: v_dual_mul_f32 v26, 0x3f08b237, v27
	v_fma_f32 v16, 0xbf3bfb3b, v23, -v16
	s_delay_alu instid0(VALU_DEP_3) | instskip(SKIP_1) | instid1(VALU_DEP_4)
	v_fmamk_f32 v9, v18, 0x3d64c772, v17
	v_mul_f32_e32 v27, 0x3f08b237, v28
	v_mul_f32_e32 v28, 0xbf5ff5aa, v19
	;; [unrolled: 1-line block ×3, first 2 shown]
	v_add_f32_e32 v13, v25, v13
	v_add_f32_e32 v1, v15, v10
	v_fma_f32 v10, 0x3f3bfb3b, v23, -v22
	v_dual_fmamk_f32 v23, v2, 0xbeae86e6, v27 :: v_dual_fmamk_f32 v22, v21, 0xbeae86e6, v26
	v_fma_f32 v17, 0xbf3bfb3b, v24, -v17
	v_fma_f32 v21, 0x3eae86e6, v21, -v28
	;; [unrolled: 1-line block ×3, first 2 shown]
	s_delay_alu instid0(VALU_DEP_4) | instskip(SKIP_1) | instid1(VALU_DEP_1)
	v_fmac_f32_e32 v23, 0xbee1c552, v20
	v_mul_f32_e32 v25, 0x3d64c772, v18
	v_fma_f32 v18, 0x3f3bfb3b, v24, -v25
	v_fma_f32 v25, 0x3eae86e6, v2, -v30
	v_fmamk_f32 v2, v14, 0xbf955555, v0
	v_fmac_f32_e32 v22, 0xbee1c552, v13
	v_fmamk_f32 v14, v15, 0xbf955555, v1
	v_fmac_f32_e32 v21, 0xbee1c552, v13
	s_delay_alu instid0(VALU_DEP_4) | instskip(NEXT) | instid1(VALU_DEP_3)
	v_add_f32_e32 v15, v10, v2
	v_add_f32_e32 v28, v17, v14
	s_delay_alu instid0(VALU_DEP_1)
	v_sub_f32_e32 v10, v28, v21
	v_add_f32_e32 v26, v9, v14
	v_fma_f32 v24, 0xbf5ff5aa, v29, -v27
	v_fmac_f32_e32 v19, 0xbee1c552, v13
	v_fmac_f32_e32 v25, 0xbee1c552, v20
	v_add_f32_e32 v27, v16, v2
	v_add_f32_e32 v16, v18, v14
	v_fmac_f32_e32 v24, 0xbee1c552, v20
	v_add_f32_e32 v20, v3, v2
	s_delay_alu instid0(VALU_DEP_3) | instskip(NEXT) | instid1(VALU_DEP_3)
	v_dual_sub_f32 v3, v26, v22 :: v_dual_add_f32 v14, v19, v16
	v_sub_f32_e32 v13, v15, v24
	s_delay_alu instid0(VALU_DEP_3)
	v_add_f32_e32 v2, v23, v20
	v_sub_f32_e32 v16, v16, v19
	v_dual_add_f32 v18, v21, v28 :: v_dual_sub_f32 v19, v20, v23
	v_dual_add_f32 v20, v22, v26 :: v_dual_add_f32 v9, v25, v27
	v_add_f32_e32 v15, v24, v15
	v_sub_f32_e32 v17, v27, v25
	ds_store_2addr_b64 v12, v[0:1], v[2:3] offset1:14
	ds_store_2addr_b64 v12, v[9:10], v[13:14] offset0:28 offset1:42
	ds_store_2addr_b64 v12, v[15:16], v[17:18] offset0:56 offset1:70
	ds_store_b64 v12, v[19:20] offset:672
	s_waitcnt lgkmcnt(0)
	s_barrier
	buffer_gl0_inv
	s_and_saveexec_b32 s0, vcc_lo
	s_cbranch_execz .LBB0_24
; %bb.23:
	v_mul_lo_u32 v2, s3, v6
	v_mul_lo_u32 v3, s2, v7
	v_mad_u64_u32 v[0:1], null, s2, v6, 0
	v_dual_mov_b32 v9, 0 :: v_dual_add_nc_u32 v6, 14, v8
	v_lshlrev_b64 v[4:5], 3, v[4:5]
	v_add_nc_u32_e32 v10, 28, v8
	v_lshl_add_u32 v26, v8, 3, v11
	s_delay_alu instid0(VALU_DEP_4) | instskip(SKIP_4) | instid1(VALU_DEP_4)
	v_mov_b32_e32 v7, v9
	v_add3_u32 v1, v1, v3, v2
	v_lshlrev_b64 v[14:15], 3, v[8:9]
	v_dual_mov_b32 v11, v9 :: v_dual_add_nc_u32 v20, 0x46, v8
	v_mov_b32_e32 v21, v9
	v_lshlrev_b64 v[12:13], 3, v[0:1]
	v_lshlrev_b64 v[6:7], 3, v[6:7]
	ds_load_2addr_b64 v[0:3], v26 offset1:14
	v_lshlrev_b64 v[20:21], 3, v[20:21]
	v_add_co_u32 v12, vcc_lo, s6, v12
	v_add_co_ci_u32_e32 v13, vcc_lo, s7, v13, vcc_lo
	s_delay_alu instid0(VALU_DEP_2) | instskip(NEXT) | instid1(VALU_DEP_2)
	v_add_co_u32 v28, vcc_lo, v12, v4
	v_add_co_ci_u32_e32 v29, vcc_lo, v13, v5, vcc_lo
	v_add_nc_u32_e32 v12, 42, v8
	v_lshlrev_b64 v[10:11], 3, v[10:11]
	s_delay_alu instid0(VALU_DEP_4) | instskip(NEXT) | instid1(VALU_DEP_4)
	v_add_co_u32 v14, vcc_lo, v28, v14
	v_add_co_ci_u32_e32 v15, vcc_lo, v29, v15, vcc_lo
	v_add_co_u32 v16, vcc_lo, v28, v6
	v_mov_b32_e32 v13, v9
	v_add_co_ci_u32_e32 v17, vcc_lo, v29, v7, vcc_lo
	v_add_co_u32 v18, vcc_lo, v28, v10
	v_add_co_ci_u32_e32 v19, vcc_lo, v29, v11, vcc_lo
	s_delay_alu instid0(VALU_DEP_4)
	v_lshlrev_b64 v[10:11], 3, v[12:13]
	v_add_nc_u32_e32 v12, 56, v8
	ds_load_2addr_b64 v[4:7], v26 offset0:28 offset1:42
	v_add_nc_u32_e32 v8, 0x54, v8
	v_add_co_u32 v22, vcc_lo, v28, v10
	v_add_co_ci_u32_e32 v23, vcc_lo, v29, v11, vcc_lo
	v_lshlrev_b64 v[24:25], 3, v[12:13]
	ds_load_2addr_b64 v[10:13], v26 offset0:56 offset1:70
	ds_load_b64 v[26:27], v26 offset:672
	v_lshlrev_b64 v[8:9], 3, v[8:9]
	v_add_co_u32 v24, vcc_lo, v28, v24
	v_add_co_ci_u32_e32 v25, vcc_lo, v29, v25, vcc_lo
	v_add_co_u32 v20, vcc_lo, v28, v20
	v_add_co_ci_u32_e32 v21, vcc_lo, v29, v21, vcc_lo
	;; [unrolled: 2-line block ×3, first 2 shown]
	s_waitcnt lgkmcnt(3)
	s_clause 0x1
	global_store_b64 v[14:15], v[0:1], off
	global_store_b64 v[16:17], v[2:3], off
	s_waitcnt lgkmcnt(2)
	s_clause 0x1
	global_store_b64 v[18:19], v[4:5], off
	global_store_b64 v[22:23], v[6:7], off
	;; [unrolled: 4-line block ×3, first 2 shown]
	s_waitcnt lgkmcnt(0)
	global_store_b64 v[8:9], v[26:27], off
.LBB0_24:
	s_nop 0
	s_sendmsg sendmsg(MSG_DEALLOC_VGPRS)
	s_endpgm
	.section	.rodata,"a",@progbits
	.p2align	6, 0x0
	.amdhsa_kernel fft_rtc_back_len98_factors_2_7_7_wgs_252_tpt_14_sp_op_CI_CI_unitstride_sbrr_C2R_dirReg
		.amdhsa_group_segment_fixed_size 0
		.amdhsa_private_segment_fixed_size 0
		.amdhsa_kernarg_size 104
		.amdhsa_user_sgpr_count 15
		.amdhsa_user_sgpr_dispatch_ptr 0
		.amdhsa_user_sgpr_queue_ptr 0
		.amdhsa_user_sgpr_kernarg_segment_ptr 1
		.amdhsa_user_sgpr_dispatch_id 0
		.amdhsa_user_sgpr_private_segment_size 0
		.amdhsa_wavefront_size32 1
		.amdhsa_uses_dynamic_stack 0
		.amdhsa_enable_private_segment 0
		.amdhsa_system_sgpr_workgroup_id_x 1
		.amdhsa_system_sgpr_workgroup_id_y 0
		.amdhsa_system_sgpr_workgroup_id_z 0
		.amdhsa_system_sgpr_workgroup_info 0
		.amdhsa_system_vgpr_workitem_id 0
		.amdhsa_next_free_vgpr 42
		.amdhsa_next_free_sgpr 27
		.amdhsa_reserve_vcc 1
		.amdhsa_float_round_mode_32 0
		.amdhsa_float_round_mode_16_64 0
		.amdhsa_float_denorm_mode_32 3
		.amdhsa_float_denorm_mode_16_64 3
		.amdhsa_dx10_clamp 1
		.amdhsa_ieee_mode 1
		.amdhsa_fp16_overflow 0
		.amdhsa_workgroup_processor_mode 1
		.amdhsa_memory_ordered 1
		.amdhsa_forward_progress 0
		.amdhsa_shared_vgpr_count 0
		.amdhsa_exception_fp_ieee_invalid_op 0
		.amdhsa_exception_fp_denorm_src 0
		.amdhsa_exception_fp_ieee_div_zero 0
		.amdhsa_exception_fp_ieee_overflow 0
		.amdhsa_exception_fp_ieee_underflow 0
		.amdhsa_exception_fp_ieee_inexact 0
		.amdhsa_exception_int_div_zero 0
	.end_amdhsa_kernel
	.text
.Lfunc_end0:
	.size	fft_rtc_back_len98_factors_2_7_7_wgs_252_tpt_14_sp_op_CI_CI_unitstride_sbrr_C2R_dirReg, .Lfunc_end0-fft_rtc_back_len98_factors_2_7_7_wgs_252_tpt_14_sp_op_CI_CI_unitstride_sbrr_C2R_dirReg
                                        ; -- End function
	.section	.AMDGPU.csdata,"",@progbits
; Kernel info:
; codeLenInByte = 4732
; NumSgprs: 29
; NumVgprs: 42
; ScratchSize: 0
; MemoryBound: 0
; FloatMode: 240
; IeeeMode: 1
; LDSByteSize: 0 bytes/workgroup (compile time only)
; SGPRBlocks: 3
; VGPRBlocks: 5
; NumSGPRsForWavesPerEU: 29
; NumVGPRsForWavesPerEU: 42
; Occupancy: 16
; WaveLimiterHint : 1
; COMPUTE_PGM_RSRC2:SCRATCH_EN: 0
; COMPUTE_PGM_RSRC2:USER_SGPR: 15
; COMPUTE_PGM_RSRC2:TRAP_HANDLER: 0
; COMPUTE_PGM_RSRC2:TGID_X_EN: 1
; COMPUTE_PGM_RSRC2:TGID_Y_EN: 0
; COMPUTE_PGM_RSRC2:TGID_Z_EN: 0
; COMPUTE_PGM_RSRC2:TIDIG_COMP_CNT: 0
	.text
	.p2alignl 7, 3214868480
	.fill 96, 4, 3214868480
	.type	__hip_cuid_f9a68d23d419f92b,@object ; @__hip_cuid_f9a68d23d419f92b
	.section	.bss,"aw",@nobits
	.globl	__hip_cuid_f9a68d23d419f92b
__hip_cuid_f9a68d23d419f92b:
	.byte	0                               ; 0x0
	.size	__hip_cuid_f9a68d23d419f92b, 1

	.ident	"AMD clang version 19.0.0git (https://github.com/RadeonOpenCompute/llvm-project roc-6.4.0 25133 c7fe45cf4b819c5991fe208aaa96edf142730f1d)"
	.section	".note.GNU-stack","",@progbits
	.addrsig
	.addrsig_sym __hip_cuid_f9a68d23d419f92b
	.amdgpu_metadata
---
amdhsa.kernels:
  - .args:
      - .actual_access:  read_only
        .address_space:  global
        .offset:         0
        .size:           8
        .value_kind:     global_buffer
      - .offset:         8
        .size:           8
        .value_kind:     by_value
      - .actual_access:  read_only
        .address_space:  global
        .offset:         16
        .size:           8
        .value_kind:     global_buffer
      - .actual_access:  read_only
        .address_space:  global
        .offset:         24
        .size:           8
        .value_kind:     global_buffer
      - .actual_access:  read_only
        .address_space:  global
        .offset:         32
        .size:           8
        .value_kind:     global_buffer
      - .offset:         40
        .size:           8
        .value_kind:     by_value
      - .actual_access:  read_only
        .address_space:  global
        .offset:         48
        .size:           8
        .value_kind:     global_buffer
      - .actual_access:  read_only
        .address_space:  global
        .offset:         56
        .size:           8
        .value_kind:     global_buffer
      - .offset:         64
        .size:           4
        .value_kind:     by_value
      - .actual_access:  read_only
        .address_space:  global
        .offset:         72
        .size:           8
        .value_kind:     global_buffer
      - .actual_access:  read_only
        .address_space:  global
        .offset:         80
        .size:           8
        .value_kind:     global_buffer
      - .actual_access:  read_only
        .address_space:  global
        .offset:         88
        .size:           8
        .value_kind:     global_buffer
      - .actual_access:  write_only
        .address_space:  global
        .offset:         96
        .size:           8
        .value_kind:     global_buffer
    .group_segment_fixed_size: 0
    .kernarg_segment_align: 8
    .kernarg_segment_size: 104
    .language:       OpenCL C
    .language_version:
      - 2
      - 0
    .max_flat_workgroup_size: 252
    .name:           fft_rtc_back_len98_factors_2_7_7_wgs_252_tpt_14_sp_op_CI_CI_unitstride_sbrr_C2R_dirReg
    .private_segment_fixed_size: 0
    .sgpr_count:     29
    .sgpr_spill_count: 0
    .symbol:         fft_rtc_back_len98_factors_2_7_7_wgs_252_tpt_14_sp_op_CI_CI_unitstride_sbrr_C2R_dirReg.kd
    .uniform_work_group_size: 1
    .uses_dynamic_stack: false
    .vgpr_count:     42
    .vgpr_spill_count: 0
    .wavefront_size: 32
    .workgroup_processor_mode: 1
amdhsa.target:   amdgcn-amd-amdhsa--gfx1100
amdhsa.version:
  - 1
  - 2
...

	.end_amdgpu_metadata
